;; amdgpu-corpus repo=ROCm/rocFFT kind=compiled arch=gfx950 opt=O3
	.text
	.amdgcn_target "amdgcn-amd-amdhsa--gfx950"
	.amdhsa_code_object_version 6
	.protected	fft_rtc_back_len1936_factors_2_2_4_11_11_wgs_176_tpt_176_dp_ip_CI_unitstride_sbrr_R2C_dirReg ; -- Begin function fft_rtc_back_len1936_factors_2_2_4_11_11_wgs_176_tpt_176_dp_ip_CI_unitstride_sbrr_R2C_dirReg
	.globl	fft_rtc_back_len1936_factors_2_2_4_11_11_wgs_176_tpt_176_dp_ip_CI_unitstride_sbrr_R2C_dirReg
	.p2align	8
	.type	fft_rtc_back_len1936_factors_2_2_4_11_11_wgs_176_tpt_176_dp_ip_CI_unitstride_sbrr_R2C_dirReg,@function
fft_rtc_back_len1936_factors_2_2_4_11_11_wgs_176_tpt_176_dp_ip_CI_unitstride_sbrr_R2C_dirReg: ; @fft_rtc_back_len1936_factors_2_2_4_11_11_wgs_176_tpt_176_dp_ip_CI_unitstride_sbrr_R2C_dirReg
; %bb.0:
	s_load_dwordx2 s[8:9], s[0:1], 0x50
	s_load_dwordx4 s[4:7], s[0:1], 0x0
	s_load_dwordx2 s[10:11], s[0:1], 0x18
	v_mul_u32_u24_e32 v1, 0x175, v0
	v_add_u32_sdwa v6, s2, v1 dst_sel:DWORD dst_unused:UNUSED_PAD src0_sel:DWORD src1_sel:WORD_1
	v_mov_b32_e32 v4, 0
	s_waitcnt lgkmcnt(0)
	v_cmp_lt_u64_e64 s[2:3], s[6:7], 2
	v_mov_b32_e32 v7, v4
	s_and_b64 vcc, exec, s[2:3]
	v_mov_b64_e32 v[2:3], 0
	s_cbranch_vccnz .LBB0_8
; %bb.1:
	s_load_dwordx2 s[2:3], s[0:1], 0x10
	s_add_u32 s12, s10, 8
	s_addc_u32 s13, s11, 0
	s_mov_b64 s[14:15], 1
	v_mov_b64_e32 v[2:3], 0
	s_waitcnt lgkmcnt(0)
	s_add_u32 s16, s2, 8
	s_addc_u32 s17, s3, 0
.LBB0_2:                                ; =>This Inner Loop Header: Depth=1
	s_load_dwordx2 s[18:19], s[16:17], 0x0
                                        ; implicit-def: $vgpr8_vgpr9
	s_waitcnt lgkmcnt(0)
	v_or_b32_e32 v5, s19, v7
	v_cmp_ne_u64_e32 vcc, 0, v[4:5]
	s_and_saveexec_b64 s[2:3], vcc
	s_xor_b64 s[20:21], exec, s[2:3]
	s_cbranch_execz .LBB0_4
; %bb.3:                                ;   in Loop: Header=BB0_2 Depth=1
	v_cvt_f32_u32_e32 v1, s18
	v_cvt_f32_u32_e32 v5, s19
	s_sub_u32 s2, 0, s18
	s_subb_u32 s3, 0, s19
	v_fmac_f32_e32 v1, 0x4f800000, v5
	v_rcp_f32_e32 v1, v1
	s_nop 0
	v_mul_f32_e32 v1, 0x5f7ffffc, v1
	v_mul_f32_e32 v5, 0x2f800000, v1
	v_trunc_f32_e32 v5, v5
	v_fmac_f32_e32 v1, 0xcf800000, v5
	v_cvt_u32_f32_e32 v5, v5
	v_cvt_u32_f32_e32 v1, v1
	v_mul_lo_u32 v8, s2, v5
	v_mul_hi_u32 v10, s2, v1
	v_mul_lo_u32 v9, s3, v1
	v_add_u32_e32 v10, v10, v8
	v_mul_lo_u32 v12, s2, v1
	v_add_u32_e32 v13, v10, v9
	v_mul_hi_u32 v8, v1, v12
	v_mul_hi_u32 v11, v1, v13
	v_mul_lo_u32 v10, v1, v13
	v_mov_b32_e32 v9, v4
	v_lshl_add_u64 v[8:9], v[8:9], 0, v[10:11]
	v_mul_hi_u32 v11, v5, v12
	v_mul_lo_u32 v12, v5, v12
	v_add_co_u32_e32 v8, vcc, v8, v12
	v_mul_hi_u32 v10, v5, v13
	s_nop 0
	v_addc_co_u32_e32 v8, vcc, v9, v11, vcc
	v_mov_b32_e32 v9, v4
	s_nop 0
	v_addc_co_u32_e32 v11, vcc, 0, v10, vcc
	v_mul_lo_u32 v10, v5, v13
	v_lshl_add_u64 v[8:9], v[8:9], 0, v[10:11]
	v_add_co_u32_e32 v1, vcc, v1, v8
	v_mul_lo_u32 v10, s2, v1
	s_nop 0
	v_addc_co_u32_e32 v5, vcc, v5, v9, vcc
	v_mul_lo_u32 v8, s2, v5
	v_mul_hi_u32 v9, s2, v1
	v_add_u32_e32 v8, v9, v8
	v_mul_lo_u32 v9, s3, v1
	v_add_u32_e32 v12, v8, v9
	v_mul_hi_u32 v14, v5, v10
	v_mul_lo_u32 v15, v5, v10
	v_mul_hi_u32 v9, v1, v12
	v_mul_lo_u32 v8, v1, v12
	v_mul_hi_u32 v10, v1, v10
	v_mov_b32_e32 v11, v4
	v_lshl_add_u64 v[8:9], v[10:11], 0, v[8:9]
	v_add_co_u32_e32 v8, vcc, v8, v15
	v_mul_hi_u32 v13, v5, v12
	s_nop 0
	v_addc_co_u32_e32 v8, vcc, v9, v14, vcc
	v_mul_lo_u32 v10, v5, v12
	s_nop 0
	v_addc_co_u32_e32 v11, vcc, 0, v13, vcc
	v_mov_b32_e32 v9, v4
	v_lshl_add_u64 v[8:9], v[8:9], 0, v[10:11]
	v_add_co_u32_e32 v1, vcc, v1, v8
	v_mul_hi_u32 v10, v6, v1
	s_nop 0
	v_addc_co_u32_e32 v5, vcc, v5, v9, vcc
	v_mad_u64_u32 v[8:9], s[2:3], v6, v5, 0
	v_mov_b32_e32 v11, v4
	v_lshl_add_u64 v[8:9], v[10:11], 0, v[8:9]
	v_mad_u64_u32 v[12:13], s[2:3], v7, v1, 0
	v_add_co_u32_e32 v1, vcc, v8, v12
	v_mad_u64_u32 v[10:11], s[2:3], v7, v5, 0
	s_nop 0
	v_addc_co_u32_e32 v8, vcc, v9, v13, vcc
	v_mov_b32_e32 v9, v4
	s_nop 0
	v_addc_co_u32_e32 v11, vcc, 0, v11, vcc
	v_lshl_add_u64 v[8:9], v[8:9], 0, v[10:11]
	v_mul_lo_u32 v1, s19, v8
	v_mul_lo_u32 v5, s18, v9
	v_mad_u64_u32 v[10:11], s[2:3], s18, v8, 0
	v_add3_u32 v1, v11, v5, v1
	v_sub_u32_e32 v5, v7, v1
	v_mov_b32_e32 v11, s19
	v_sub_co_u32_e32 v14, vcc, v6, v10
	v_lshl_add_u64 v[12:13], v[8:9], 0, 1
	s_nop 0
	v_subb_co_u32_e64 v5, s[2:3], v5, v11, vcc
	v_subrev_co_u32_e64 v10, s[2:3], s18, v14
	v_subb_co_u32_e32 v1, vcc, v7, v1, vcc
	s_nop 0
	v_subbrev_co_u32_e64 v5, s[2:3], 0, v5, s[2:3]
	v_cmp_le_u32_e64 s[2:3], s19, v5
	v_cmp_le_u32_e32 vcc, s19, v1
	s_nop 0
	v_cndmask_b32_e64 v11, 0, -1, s[2:3]
	v_cmp_le_u32_e64 s[2:3], s18, v10
	s_nop 1
	v_cndmask_b32_e64 v10, 0, -1, s[2:3]
	v_cmp_eq_u32_e64 s[2:3], s19, v5
	s_nop 1
	v_cndmask_b32_e64 v5, v11, v10, s[2:3]
	v_lshl_add_u64 v[10:11], v[8:9], 0, 2
	v_cmp_ne_u32_e64 s[2:3], 0, v5
	s_nop 1
	v_cndmask_b32_e64 v5, v13, v11, s[2:3]
	v_cndmask_b32_e64 v11, 0, -1, vcc
	v_cmp_le_u32_e32 vcc, s18, v14
	s_nop 1
	v_cndmask_b32_e64 v13, 0, -1, vcc
	v_cmp_eq_u32_e32 vcc, s19, v1
	s_nop 1
	v_cndmask_b32_e32 v1, v11, v13, vcc
	v_cmp_ne_u32_e32 vcc, 0, v1
	v_cndmask_b32_e64 v1, v12, v10, s[2:3]
	s_nop 0
	v_cndmask_b32_e32 v9, v9, v5, vcc
	v_cndmask_b32_e32 v8, v8, v1, vcc
.LBB0_4:                                ;   in Loop: Header=BB0_2 Depth=1
	s_andn2_saveexec_b64 s[2:3], s[20:21]
	s_cbranch_execz .LBB0_6
; %bb.5:                                ;   in Loop: Header=BB0_2 Depth=1
	v_cvt_f32_u32_e32 v1, s18
	s_sub_i32 s20, 0, s18
	v_rcp_iflag_f32_e32 v1, v1
	s_nop 0
	v_mul_f32_e32 v1, 0x4f7ffffe, v1
	v_cvt_u32_f32_e32 v1, v1
	v_mul_lo_u32 v5, s20, v1
	v_mul_hi_u32 v5, v1, v5
	v_add_u32_e32 v1, v1, v5
	v_mul_hi_u32 v1, v6, v1
	v_mul_lo_u32 v5, v1, s18
	v_sub_u32_e32 v5, v6, v5
	v_add_u32_e32 v8, 1, v1
	v_subrev_u32_e32 v9, s18, v5
	v_cmp_le_u32_e32 vcc, s18, v5
	s_nop 1
	v_cndmask_b32_e32 v5, v5, v9, vcc
	v_cndmask_b32_e32 v1, v1, v8, vcc
	v_add_u32_e32 v8, 1, v1
	v_cmp_le_u32_e32 vcc, s18, v5
	v_mov_b32_e32 v9, v4
	s_nop 0
	v_cndmask_b32_e32 v8, v1, v8, vcc
.LBB0_6:                                ;   in Loop: Header=BB0_2 Depth=1
	s_or_b64 exec, exec, s[2:3]
	v_mad_u64_u32 v[10:11], s[2:3], v8, s18, 0
	s_load_dwordx2 s[2:3], s[12:13], 0x0
	v_mul_lo_u32 v1, v9, s18
	v_mul_lo_u32 v5, v8, s19
	v_add3_u32 v1, v11, v5, v1
	v_sub_co_u32_e32 v5, vcc, v6, v10
	s_add_u32 s14, s14, 1
	s_nop 0
	v_subb_co_u32_e32 v1, vcc, v7, v1, vcc
	s_addc_u32 s15, s15, 0
	s_waitcnt lgkmcnt(0)
	v_mul_lo_u32 v1, s2, v1
	v_mul_lo_u32 v6, s3, v5
	v_mad_u64_u32 v[2:3], s[2:3], s2, v5, v[2:3]
	s_add_u32 s12, s12, 8
	v_add3_u32 v3, v6, v3, v1
	s_addc_u32 s13, s13, 0
	v_mov_b64_e32 v[6:7], s[6:7]
	s_add_u32 s16, s16, 8
	v_cmp_ge_u64_e32 vcc, s[14:15], v[6:7]
	s_addc_u32 s17, s17, 0
	s_cbranch_vccnz .LBB0_9
; %bb.7:                                ;   in Loop: Header=BB0_2 Depth=1
	v_mov_b64_e32 v[6:7], v[8:9]
	s_branch .LBB0_2
.LBB0_8:
	v_mov_b64_e32 v[8:9], v[6:7]
.LBB0_9:
	s_lshl_b64 s[2:3], s[6:7], 3
	s_add_u32 s2, s10, s2
	s_addc_u32 s3, s11, s3
	s_load_dwordx2 s[6:7], s[2:3], 0x0
	s_load_dwordx2 s[10:11], s[0:1], 0x20
	s_mov_b32 s2, 0x1745d18
                                        ; implicit-def: $vgpr66
                                        ; implicit-def: $vgpr72
                                        ; implicit-def: $vgpr70
                                        ; implicit-def: $vgpr68
                                        ; implicit-def: $vgpr64
	s_waitcnt lgkmcnt(0)
	v_mul_lo_u32 v1, s6, v9
	v_mul_lo_u32 v4, s7, v8
	v_mad_u64_u32 v[2:3], s[0:1], s6, v8, v[2:3]
	v_add3_u32 v3, v4, v3, v1
	v_mul_hi_u32 v1, v0, s2
	v_mul_u32_u24_e32 v1, 0xb0, v1
	v_cmp_gt_u64_e64 s[0:1], s[10:11], v[8:9]
	v_cmp_le_u64_e32 vcc, s[10:11], v[8:9]
	v_sub_u32_e32 v60, v0, v1
	s_and_saveexec_b64 s[2:3], vcc
	s_xor_b64 s[2:3], exec, s[2:3]
; %bb.10:
	v_add_u32_e32 v66, 0xb0, v60
	v_add_u32_e32 v72, 0x160, v60
	;; [unrolled: 1-line block ×5, first 2 shown]
; %bb.11:
	s_or_saveexec_b64 s[2:3], s[2:3]
	v_lshl_add_u64 v[62:63], v[2:3], 4, s[8:9]
	s_xor_b64 exec, exec, s[2:3]
	s_cbranch_execz .LBB0_13
; %bb.12:
	v_mov_b32_e32 v61, 0
	v_lshl_add_u64 v[32:33], v[60:61], 4, v[62:63]
	v_add_co_u32_e32 v16, vcc, 0x1000, v32
	global_load_dwordx4 v[0:3], v[32:33], off
	global_load_dwordx4 v[4:7], v[32:33], off offset:2816
	v_addc_co_u32_e32 v17, vcc, 0, v33, vcc
	v_add_co_u32_e32 v24, vcc, 0x2000, v32
	v_add_u32_e32 v66, 0xb0, v60
	s_nop 0
	v_addc_co_u32_e32 v25, vcc, 0, v33, vcc
	v_add_co_u32_e32 v26, vcc, 0x3000, v32
	global_load_dwordx4 v[8:11], v[16:17], off offset:1536
	global_load_dwordx4 v[12:15], v[24:25], off offset:256
	v_addc_co_u32_e32 v27, vcc, 0, v33, vcc
	v_add_co_u32_e32 v34, vcc, 0x4000, v32
	global_load_dwordx4 v[16:19], v[24:25], off offset:3072
	global_load_dwordx4 v[20:23], v[26:27], off offset:1792
	;; [unrolled: 4-line block ×3, first 2 shown]
	v_addc_co_u32_e32 v45, vcc, 0, v33, vcc
	v_add_co_u32_e32 v46, vcc, 0x6000, v32
	v_add_u32_e32 v72, 0x160, v60
	s_nop 0
	v_addc_co_u32_e32 v47, vcc, 0, v33, vcc
	global_load_dwordx4 v[32:35], v[44:45], off offset:2048
	global_load_dwordx4 v[36:39], v[46:47], off offset:768
	;; [unrolled: 1-line block ×3, first 2 shown]
	v_lshl_add_u32 v44, v60, 4, 0
	v_add_u32_e32 v70, 0x210, v60
	v_add_u32_e32 v68, 0x2c0, v60
	;; [unrolled: 1-line block ×3, first 2 shown]
	s_waitcnt vmcnt(10)
	ds_write_b128 v44, v[0:3]
	s_waitcnt vmcnt(9)
	ds_write_b128 v44, v[4:7] offset:2816
	s_waitcnt vmcnt(8)
	ds_write_b128 v44, v[8:11] offset:5632
	;; [unrolled: 2-line block ×10, first 2 shown]
.LBB0_13:
	s_or_b64 exec, exec, s[2:3]
	v_lshlrev_b32_e32 v61, 4, v60
	v_add_u32_e32 v74, 0, v61
	s_waitcnt lgkmcnt(0)
	s_barrier
	ds_read_b128 v[0:3], v74
	ds_read_b128 v[4:7], v74 offset:2816
	ds_read_b128 v[8:11], v74 offset:15488
	;; [unrolled: 1-line block ×9, first 2 shown]
	s_waitcnt lgkmcnt(7)
	v_add_f64 v[40:41], v[0:1], -v[8:9]
	v_add_f64 v[42:43], v[2:3], -v[10:11]
	v_fma_f64 v[44:45], v[0:1], 2.0, -v[40:41]
	v_fma_f64 v[46:47], v[2:3], 2.0, -v[42:43]
	ds_read_b128 v[0:3], v74 offset:26752
	ds_read_b128 v[8:11], v74 offset:29568
	s_waitcnt lgkmcnt(8)
	v_add_f64 v[12:13], v[4:5], -v[12:13]
	v_add_f64 v[14:15], v[6:7], -v[14:15]
	s_waitcnt lgkmcnt(5)
	v_add_f64 v[24:25], v[16:17], -v[24:25]
	v_add_f64 v[26:27], v[18:19], -v[26:27]
	s_waitcnt lgkmcnt(4)
	v_add_f64 v[28:29], v[20:21], -v[28:29]
	v_add_f64 v[30:31], v[22:23], -v[30:31]
	s_waitcnt lgkmcnt(1)
	v_add_f64 v[50:51], v[32:33], -v[0:1]
	v_add_f64 v[52:53], v[34:35], -v[2:3]
	s_waitcnt lgkmcnt(0)
	v_add_f64 v[0:1], v[36:37], -v[8:9]
	v_add_f64 v[2:3], v[38:39], -v[10:11]
	s_movk_i32 s2, 0x58
	v_fma_f64 v[4:5], v[4:5], 2.0, -v[12:13]
	v_fma_f64 v[6:7], v[6:7], 2.0, -v[14:15]
	v_fma_f64 v[16:17], v[16:17], 2.0, -v[24:25]
	v_fma_f64 v[18:19], v[18:19], 2.0, -v[26:27]
	v_fma_f64 v[20:21], v[20:21], 2.0, -v[28:29]
	v_fma_f64 v[22:23], v[22:23], 2.0, -v[30:31]
	v_fma_f64 v[32:33], v[32:33], 2.0, -v[50:51]
	v_fma_f64 v[34:35], v[34:35], 2.0, -v[52:53]
	v_fma_f64 v[8:9], v[36:37], 2.0, -v[0:1]
	v_fma_f64 v[10:11], v[38:39], 2.0, -v[2:3]
	v_add_u32_e32 v36, v74, v61
	v_lshl_add_u32 v48, v66, 5, 0
	v_lshl_add_u32 v49, v72, 5, 0
	;; [unrolled: 1-line block ×4, first 2 shown]
	v_cmp_gt_u32_e32 vcc, s2, v60
	s_barrier
	ds_write_b128 v36, v[44:47]
	ds_write_b128 v36, v[40:43] offset:16
	ds_write_b128 v48, v[4:7]
	ds_write_b128 v48, v[12:15] offset:16
	;; [unrolled: 2-line block ×5, first 2 shown]
	s_and_saveexec_b64 s[2:3], vcc
	s_cbranch_execz .LBB0_15
; %bb.14:
	v_lshl_add_u32 v4, v64, 5, 0
	ds_write_b128 v4, v[8:11]
	ds_write_b128 v4, v[0:3] offset:16
.LBB0_15:
	s_or_b64 exec, exec, s[2:3]
	v_lshlrev_b32_e32 v52, 4, v66
	v_lshlrev_b32_e32 v57, 4, v72
	;; [unrolled: 1-line block ×4, first 2 shown]
	v_sub_u32_e32 v16, v48, v52
	v_sub_u32_e32 v17, v49, v57
	v_sub_u32_e32 v24, v67, v71
	v_sub_u32_e32 v25, v69, v73
	s_waitcnt lgkmcnt(0)
	s_barrier
	ds_read_b128 v[4:7], v74
	ds_read_b128 v[12:15], v74 offset:15488
	ds_read_b128 v[20:23], v16
	ds_read_b128 v[16:19], v17
	ds_read_b128 v[36:39], v74 offset:18304
	ds_read_b128 v[32:35], v74 offset:21120
	ds_read_b128 v[28:31], v24
	ds_read_b128 v[24:27], v25
	ds_read_b128 v[44:47], v74 offset:23936
	ds_read_b128 v[40:43], v74 offset:26752
	v_lshlrev_b32_e32 v50, 1, v66
	v_lshlrev_b32_e32 v55, 1, v72
	;; [unrolled: 1-line block ×4, first 2 shown]
	v_lshl_add_u32 v75, v64, 4, 0
	s_and_saveexec_b64 s[2:3], vcc
	s_cbranch_execz .LBB0_17
; %bb.16:
	ds_read_b128 v[8:11], v75
	ds_read_b128 v[0:3], v74 offset:29568
.LBB0_17:
	s_or_b64 exec, exec, s[2:3]
	v_and_b32_e32 v56, 1, v60
	v_lshlrev_b32_e32 v53, 4, v56
	global_load_dwordx4 v[76:79], v53, s[4:5]
	s_movk_i32 s3, 0x3fc
	s_movk_i32 s6, 0x7fc
	v_and_or_b32 v50, v50, s3, v56
	v_and_or_b32 v55, v55, s6, v56
	;; [unrolled: 1-line block ×4, first 2 shown]
	v_lshl_add_u32 v65, v50, 4, 0
	v_lshl_add_u32 v96, v55, 4, 0
	v_lshl_add_u32 v97, v54, 4, 0
	v_lshl_add_u32 v98, v51, 4, 0
	v_sub_u32_e32 v53, 0, v52
	v_sub_u32_e32 v52, 0, v57
	v_lshlrev_b32_e32 v57, 1, v60
	s_movk_i32 s2, 0x1fc
	v_and_or_b32 v57, v57, s2, v56
	v_lshl_add_u32 v57, v57, 4, 0
	s_waitcnt lgkmcnt(0)
	s_barrier
	s_waitcnt vmcnt(0)
	v_mul_f64 v[50:51], v[14:15], v[78:79]
	v_mul_f64 v[54:55], v[12:13], v[78:79]
	;; [unrolled: 1-line block ×12, first 2 shown]
	v_fmac_f64_e32 v[50:51], v[12:13], v[76:77]
	v_fma_f64 v[12:13], v[14:15], v[76:77], -v[54:55]
	v_fmac_f64_e32 v[58:59], v[36:37], v[76:77]
	v_fma_f64 v[14:15], v[38:39], v[76:77], -v[80:81]
	;; [unrolled: 2-line block ×6, first 2 shown]
	v_add_f64 v[32:33], v[4:5], -v[50:51]
	v_add_f64 v[34:35], v[6:7], -v[12:13]
	;; [unrolled: 1-line block ×12, first 2 shown]
	v_fma_f64 v[76:77], v[4:5], 2.0, -v[32:33]
	v_fma_f64 v[78:79], v[6:7], 2.0, -v[34:35]
	;; [unrolled: 1-line block ×12, first 2 shown]
	ds_write_b128 v57, v[32:35] offset:32
	ds_write_b128 v57, v[76:79]
	ds_write_b128 v65, v[20:23]
	ds_write_b128 v65, v[36:39] offset:32
	ds_write_b128 v96, v[16:19]
	ds_write_b128 v96, v[40:43] offset:32
	;; [unrolled: 2-line block ×4, first 2 shown]
	s_and_saveexec_b64 s[2:3], vcc
	s_cbranch_execz .LBB0_19
; %bb.18:
	v_lshlrev_b32_e32 v16, 1, v64
	v_and_or_b32 v16, v16, s6, v56
	v_lshl_add_u32 v16, v16, 4, 0
	ds_write_b128 v16, v[8:11]
	ds_write_b128 v16, v[12:15] offset:32
.LBB0_19:
	s_or_b64 exec, exec, s[2:3]
	s_waitcnt lgkmcnt(0)
	s_barrier
	ds_read_b128 v[16:19], v74
	ds_read_b128 v[24:27], v74 offset:7744
	v_add_u32_e32 v76, v48, v53
	ds_read_b128 v[40:43], v74 offset:15488
	ds_read_b128 v[28:31], v74 offset:10560
	;; [unrolled: 1-line block ×4, first 2 shown]
	ds_read_b128 v[20:23], v76
	ds_read_b128 v[36:39], v74 offset:26048
	s_movk_i32 s2, 0x84
	v_cmp_gt_u32_e64 s[2:3], s2, v60
	v_add_u32_e32 v65, v49, v52
	s_and_saveexec_b64 s[6:7], s[2:3]
	s_cbranch_execz .LBB0_21
; %bb.20:
	ds_read_b128 v[0:3], v74 offset:13376
	ds_read_b128 v[8:11], v74 offset:21120
	ds_read_b128 v[4:7], v65
	ds_read_b128 v[12:15], v74 offset:28864
.LBB0_21:
	s_or_b64 exec, exec, s[6:7]
	v_and_b32_e32 v77, 3, v60
	v_mul_u32_u24_e32 v48, 3, v77
	v_lshlrev_b32_e32 v78, 4, v48
	global_load_dwordx4 v[52:55], v78, s[4:5] offset:32
	global_load_dwordx4 v[56:59], v78, s[4:5] offset:48
	;; [unrolled: 1-line block ×3, first 2 shown]
	v_lshlrev_b32_e32 v78, 2, v60
	s_movk_i32 s6, 0x3f0
	v_lshlrev_b32_e32 v79, 2, v66
	s_movk_i32 s7, 0x7f0
	v_and_or_b32 v78, v78, s6, v77
	v_and_or_b32 v79, v79, s7, v77
	v_lshl_add_u32 v102, v78, 4, 0
	v_lshl_add_u32 v103, v79, 4, 0
	v_sub_u32_e32 v71, 0, v71
	v_sub_u32_e32 v73, 0, v73
	s_waitcnt lgkmcnt(0)
	s_barrier
	s_waitcnt vmcnt(2)
	v_mul_f64 v[78:79], v[26:27], v[54:55]
	v_mul_f64 v[80:81], v[24:25], v[54:55]
	s_waitcnt vmcnt(1)
	v_mul_f64 v[82:83], v[42:43], v[58:59]
	v_mul_f64 v[84:85], v[40:41], v[58:59]
	;; [unrolled: 3-line block ×3, first 2 shown]
	v_mul_f64 v[90:91], v[30:31], v[54:55]
	v_mul_f64 v[92:93], v[28:29], v[54:55]
	;; [unrolled: 1-line block ×6, first 2 shown]
	v_fmac_f64_e32 v[78:79], v[24:25], v[52:53]
	v_fma_f64 v[24:25], v[26:27], v[52:53], -v[80:81]
	v_fmac_f64_e32 v[82:83], v[40:41], v[56:57]
	v_fma_f64 v[26:27], v[42:43], v[56:57], -v[84:85]
	;; [unrolled: 2-line block ×6, first 2 shown]
	v_add_f64 v[34:35], v[16:17], -v[82:83]
	v_add_f64 v[36:37], v[18:19], -v[26:27]
	;; [unrolled: 1-line block ×8, first 2 shown]
	v_fma_f64 v[44:45], v[16:17], 2.0, -v[34:35]
	v_fma_f64 v[46:47], v[18:19], 2.0, -v[36:37]
	v_fma_f64 v[78:79], v[78:79], 2.0, -v[26:27]
	v_fma_f64 v[80:81], v[24:25], 2.0, -v[38:39]
	v_add_f64 v[16:17], v[34:35], v[38:39]
	v_add_f64 v[18:19], v[36:37], -v[26:27]
	v_fma_f64 v[82:83], v[20:21], 2.0, -v[40:41]
	v_fma_f64 v[84:85], v[22:23], 2.0, -v[42:43]
	;; [unrolled: 1-line block ×4, first 2 shown]
	v_add_f64 v[20:21], v[40:41], v[32:33]
	v_add_f64 v[22:23], v[42:43], -v[30:31]
	v_add_f64 v[24:25], v[44:45], -v[78:79]
	;; [unrolled: 1-line block ×3, first 2 shown]
	v_fma_f64 v[28:29], v[34:35], 2.0, -v[16:17]
	v_fma_f64 v[30:31], v[36:37], 2.0, -v[18:19]
	v_add_f64 v[32:33], v[82:83], -v[38:39]
	v_add_f64 v[34:35], v[84:85], -v[86:87]
	v_fma_f64 v[36:37], v[40:41], 2.0, -v[20:21]
	v_fma_f64 v[38:39], v[42:43], 2.0, -v[22:23]
	ds_write_b128 v102, v[16:19] offset:192
	v_fma_f64 v[16:17], v[44:45], 2.0, -v[24:25]
	v_fma_f64 v[18:19], v[46:47], 2.0, -v[26:27]
	;; [unrolled: 1-line block ×4, first 2 shown]
	ds_write_b128 v102, v[28:31] offset:64
	ds_write_b128 v102, v[24:27] offset:128
	ds_write_b128 v102, v[16:19]
	ds_write_b128 v103, v[40:43]
	ds_write_b128 v103, v[36:39] offset:64
	ds_write_b128 v103, v[32:35] offset:128
	;; [unrolled: 1-line block ×3, first 2 shown]
	s_and_saveexec_b64 s[6:7], s[2:3]
	s_cbranch_execz .LBB0_23
; %bb.22:
	v_mul_f64 v[24:25], v[2:3], v[54:55]
	v_mul_f64 v[16:17], v[8:9], v[58:59]
	v_fmac_f64_e32 v[24:25], v[0:1], v[52:53]
	v_mul_f64 v[0:1], v[0:1], v[54:55]
	v_fma_f64 v[16:17], v[10:11], v[56:57], -v[16:17]
	v_mul_f64 v[10:11], v[10:11], v[58:59]
	v_fma_f64 v[0:1], v[2:3], v[52:53], -v[0:1]
	v_mul_f64 v[2:3], v[12:13], v[50:51]
	v_add_f64 v[22:23], v[6:7], -v[16:17]
	v_mul_f64 v[16:17], v[14:15], v[50:51]
	v_fmac_f64_e32 v[10:11], v[8:9], v[56:57]
	v_fma_f64 v[2:3], v[14:15], v[48:49], -v[2:3]
	v_fmac_f64_e32 v[16:17], v[12:13], v[48:49]
	v_add_f64 v[8:9], v[4:5], -v[10:11]
	v_add_f64 v[2:3], v[0:1], -v[2:3]
	;; [unrolled: 1-line block ×3, first 2 shown]
	v_add_f64 v[14:15], v[8:9], v[2:3]
	v_fma_f64 v[6:7], v[6:7], 2.0, -v[22:23]
	v_fma_f64 v[0:1], v[0:1], 2.0, -v[2:3]
	;; [unrolled: 1-line block ×3, first 2 shown]
	v_add_f64 v[2:3], v[6:7], -v[0:1]
	v_fma_f64 v[4:5], v[4:5], 2.0, -v[8:9]
	v_fma_f64 v[0:1], v[24:25], 2.0, -v[26:27]
	v_lshlrev_b32_e32 v8, 2, v72
	s_movk_i32 s2, 0xff0
	v_add_f64 v[0:1], v[4:5], -v[0:1]
	v_and_or_b32 v8, v8, s2, v77
	v_add_f64 v[16:17], v[22:23], -v[26:27]
	v_fma_f64 v[6:7], v[6:7], 2.0, -v[2:3]
	v_fma_f64 v[4:5], v[4:5], 2.0, -v[0:1]
	v_lshl_add_u32 v8, v8, 4, 0
	v_fma_f64 v[20:21], v[22:23], 2.0, -v[16:17]
	ds_write_b128 v8, v[4:7]
	ds_write_b128 v8, v[18:21] offset:64
	ds_write_b128 v8, v[0:3] offset:128
	;; [unrolled: 1-line block ×3, first 2 shown]
.LBB0_23:
	s_or_b64 exec, exec, s[6:7]
	v_and_b32_e32 v22, 15, v60
	v_mul_u32_u24_e32 v0, 10, v22
	v_lshlrev_b32_e32 v4, 4, v0
	s_waitcnt lgkmcnt(0)
	s_barrier
	global_load_dwordx4 v[0:3], v4, s[4:5] offset:224
	global_load_dwordx4 v[8:11], v4, s[4:5] offset:240
	;; [unrolled: 1-line block ×10, first 2 shown]
	v_add_u32_e32 v21, v67, v71
	ds_read_b128 v[52:55], v65
	ds_read_b128 v[56:59], v75
	;; [unrolled: 1-line block ×3, first 2 shown]
	ds_read_b128 v[82:85], v74 offset:16896
	ds_read_b128 v[86:89], v74 offset:19712
	;; [unrolled: 1-line block ×5, first 2 shown]
	ds_read_b128 v[102:105], v76
	v_add_u32_e32 v20, v69, v73
	ds_read_b128 v[106:109], v21
	ds_read_b128 v[110:113], v20
	s_mov_b32 s2, 0xf8bb580b
	s_mov_b32 s8, 0x8eee2c13
	;; [unrolled: 1-line block ×30, first 2 shown]
	v_lshrrev_b32_e32 v23, 4, v60
	v_mul_u32_u24_e32 v23, 0xb0, v23
	v_or_b32_e32 v22, v23, v22
	v_lshl_add_u32 v22, v22, 4, 0
	s_waitcnt lgkmcnt(0)
	s_barrier
	s_waitcnt vmcnt(9)
	v_mul_f64 v[114:115], v[104:105], v[2:3]
	v_mul_f64 v[2:3], v[102:103], v[2:3]
	s_waitcnt vmcnt(8)
	v_mul_f64 v[116:117], v[54:55], v[10:11]
	v_mul_f64 v[10:11], v[52:53], v[10:11]
	;; [unrolled: 3-line block ×5, first 2 shown]
	v_fmac_f64_e32 v[114:115], v[102:103], v[0:1]
	v_fma_f64 v[0:1], v[104:105], v[0:1], -v[2:3]
	s_waitcnt vmcnt(2)
	v_mul_f64 v[2:3], v[90:91], v[42:43]
	s_waitcnt vmcnt(0)
	v_mul_f64 v[102:103], v[100:101], v[50:51]
	v_mul_f64 v[50:51], v[98:99], v[50:51]
	;; [unrolled: 1-line block ×6, first 2 shown]
	v_fmac_f64_e32 v[116:117], v[52:53], v[8:9]
	v_fma_f64 v[52:53], v[54:55], v[8:9], -v[10:11]
	v_fmac_f64_e32 v[118:119], v[106:107], v[16:17]
	v_fma_f64 v[54:55], v[108:109], v[16:17], -v[18:19]
	;; [unrolled: 2-line block ×4, first 2 shown]
	v_fma_f64 v[24:25], v[92:93], v[40:41], -v[2:3]
	v_fma_f64 v[2:3], v[100:101], v[48:49], -v[50:51]
	v_add_f64 v[28:29], v[78:79], v[114:115]
	v_add_f64 v[30:31], v[80:81], v[0:1]
	v_fma_f64 v[10:11], v[84:85], v[32:33], -v[34:35]
	v_fma_f64 v[18:19], v[88:89], v[36:37], -v[38:39]
	v_add_f64 v[34:35], v[0:1], v[2:3]
	v_add_f64 v[38:39], v[0:1], -v[2:3]
	v_add_f64 v[0:1], v[28:29], v[116:117]
	v_add_f64 v[28:29], v[30:31], v[52:53]
	;; [unrolled: 1-line block ×6, first 2 shown]
	v_mul_f64 v[120:121], v[92:93], v[42:43]
	v_mul_f64 v[42:43], v[96:97], v[46:47]
	;; [unrolled: 1-line block ×3, first 2 shown]
	v_add_f64 v[28:29], v[28:29], v[18:19]
	v_fma_f64 v[26:27], v[96:97], v[44:45], -v[46:47]
	v_add_f64 v[0:1], v[0:1], v[118:119]
	v_add_f64 v[28:29], v[28:29], v[24:25]
	v_fmac_f64_e32 v[102:103], v[98:99], v[48:49]
	v_add_f64 v[0:1], v[0:1], v[12:13]
	v_add_f64 v[28:29], v[28:29], v[26:27]
	v_fmac_f64_e32 v[6:7], v[82:83], v[32:33]
	v_add_f64 v[32:33], v[114:115], v[102:103]
	v_add_f64 v[0:1], v[0:1], v[4:5]
	;; [unrolled: 1-line block ×3, first 2 shown]
	v_mul_f64 v[28:29], v[38:39], s[2:3]
	v_mul_f64 v[46:47], v[38:39], s[8:9]
	;; [unrolled: 1-line block ×5, first 2 shown]
	v_fmac_f64_e32 v[14:15], v[86:87], v[36:37]
	v_fmac_f64_e32 v[120:121], v[90:91], v[40:41]
	;; [unrolled: 1-line block ×3, first 2 shown]
	v_add_f64 v[36:37], v[114:115], -v[102:103]
	v_add_f64 v[0:1], v[0:1], v[6:7]
	v_fma_f64 v[30:31], s[16:17], v[32:33], v[28:29]
	v_mul_f64 v[40:41], v[34:35], s[16:17]
	v_fma_f64 v[28:29], v[32:33], s[16:17], -v[28:29]
	v_fma_f64 v[48:49], s[10:11], v[32:33], v[46:47]
	v_mul_f64 v[50:51], v[34:35], s[10:11]
	v_fma_f64 v[46:47], v[32:33], s[10:11], -v[46:47]
	;; [unrolled: 3-line block ×5, first 2 shown]
	v_add_f64 v[38:39], v[52:53], v[26:27]
	v_add_f64 v[26:27], v[52:53], -v[26:27]
	v_add_f64 v[0:1], v[0:1], v[14:15]
	v_fma_f64 v[44:45], s[18:19], v[36:37], v[40:41]
	v_fmac_f64_e32 v[40:41], s[2:3], v[36:37]
	v_fma_f64 v[56:57], s[12:13], v[36:37], v[50:51]
	v_fmac_f64_e32 v[50:51], s[8:9], v[36:37]
	;; [unrolled: 2-line block ×5, first 2 shown]
	v_add_f64 v[36:37], v[116:117], v[42:43]
	v_mul_f64 v[52:53], v[26:27], s[8:9]
	v_add_f64 v[0:1], v[0:1], v[120:121]
	v_add_f64 v[30:31], v[78:79], v[30:31]
	;; [unrolled: 1-line block ×11, first 2 shown]
	v_fma_f64 v[78:79], s[10:11], v[36:37], v[52:53]
	v_add_f64 v[0:1], v[0:1], v[42:43]
	v_add_f64 v[42:43], v[116:117], -v[42:43]
	v_add_f64 v[30:31], v[78:79], v[30:31]
	v_mul_f64 v[78:79], v[38:39], s[10:11]
	v_fma_f64 v[52:53], v[36:37], s[10:11], -v[52:53]
	v_add_f64 v[44:45], v[80:81], v[44:45]
	v_add_f64 v[40:41], v[80:81], v[40:41]
	;; [unrolled: 1-line block ×10, first 2 shown]
	v_fma_f64 v[80:81], s[12:13], v[42:43], v[78:79]
	v_add_f64 v[28:29], v[52:53], v[28:29]
	v_fmac_f64_e32 v[78:79], s[8:9], v[42:43]
	v_mul_f64 v[52:53], v[26:27], s[22:23]
	v_add_f64 v[40:41], v[78:79], v[40:41]
	v_fma_f64 v[78:79], s[24:25], v[36:37], v[52:53]
	v_add_f64 v[48:49], v[78:79], v[48:49]
	v_mul_f64 v[78:79], v[38:39], s[24:25]
	v_fma_f64 v[52:53], v[36:37], s[24:25], -v[52:53]
	v_add_f64 v[44:45], v[80:81], v[44:45]
	v_fma_f64 v[80:81], s[26:27], v[42:43], v[78:79]
	v_add_f64 v[46:47], v[52:53], v[46:47]
	v_fmac_f64_e32 v[78:79], s[22:23], v[42:43]
	v_mul_f64 v[52:53], v[26:27], s[34:35]
	v_add_f64 v[56:57], v[80:81], v[56:57]
	v_add_f64 v[50:51], v[78:79], v[50:51]
	v_fma_f64 v[78:79], s[30:31], v[36:37], v[52:53]
	v_mul_f64 v[80:81], v[38:39], s[30:31]
	v_add_f64 v[78:79], v[78:79], v[82:83]
	v_fma_f64 v[82:83], s[28:29], v[42:43], v[80:81]
	v_fma_f64 v[52:53], v[36:37], s[30:31], -v[52:53]
	v_fmac_f64_e32 v[80:81], s[34:35], v[42:43]
	v_add_f64 v[52:53], v[52:53], v[58:59]
	v_add_f64 v[58:59], v[80:81], v[84:85]
	v_mul_f64 v[80:81], v[26:27], s[20:21]
	v_add_f64 v[82:83], v[82:83], v[86:87]
	v_fma_f64 v[84:85], s[14:15], v[36:37], v[80:81]
	v_mul_f64 v[86:87], v[38:39], s[14:15]
	v_add_f64 v[84:85], v[84:85], v[90:91]
	v_fma_f64 v[90:91], s[6:7], v[42:43], v[86:87]
	v_fma_f64 v[80:81], v[36:37], s[14:15], -v[80:81]
	v_fmac_f64_e32 v[86:87], s[20:21], v[42:43]
	v_mul_f64 v[26:27], v[26:27], s[18:19]
	v_mul_f64 v[38:39], v[38:39], s[16:17]
	v_add_f64 v[80:81], v[80:81], v[88:89]
	v_add_f64 v[86:87], v[86:87], v[92:93]
	v_fma_f64 v[88:89], s[16:17], v[36:37], v[26:27]
	v_fma_f64 v[92:93], s[2:3], v[42:43], v[38:39]
	v_fma_f64 v[26:27], v[36:37], s[16:17], -v[26:27]
	v_fmac_f64_e32 v[38:39], s[18:19], v[42:43]
	v_add_f64 v[36:37], v[54:55], v[24:25]
	v_add_f64 v[24:25], v[54:55], -v[24:25]
	v_add_f64 v[26:27], v[26:27], v[32:33]
	v_add_f64 v[32:33], v[38:39], v[34:35]
	;; [unrolled: 1-line block ×3, first 2 shown]
	v_mul_f64 v[42:43], v[24:25], s[6:7]
	v_fma_f64 v[54:55], s[14:15], v[34:35], v[42:43]
	v_add_f64 v[38:39], v[118:119], -v[120:121]
	v_add_f64 v[30:31], v[54:55], v[30:31]
	v_mul_f64 v[54:55], v[36:37], s[14:15]
	v_fma_f64 v[42:43], v[34:35], s[14:15], -v[42:43]
	v_add_f64 v[90:91], v[90:91], v[94:95]
	v_fma_f64 v[94:95], s[20:21], v[38:39], v[54:55]
	v_add_f64 v[28:29], v[42:43], v[28:29]
	v_fmac_f64_e32 v[54:55], s[6:7], v[38:39]
	v_mul_f64 v[42:43], v[24:25], s[34:35]
	v_add_f64 v[40:41], v[54:55], v[40:41]
	v_fma_f64 v[54:55], s[30:31], v[34:35], v[42:43]
	v_add_f64 v[48:49], v[54:55], v[48:49]
	v_mul_f64 v[54:55], v[36:37], s[30:31]
	v_add_f64 v[44:45], v[94:95], v[44:45]
	v_fma_f64 v[94:95], s[28:29], v[38:39], v[54:55]
	v_fma_f64 v[42:43], v[34:35], s[30:31], -v[42:43]
	v_fmac_f64_e32 v[54:55], s[34:35], v[38:39]
	v_add_f64 v[42:43], v[42:43], v[46:47]
	v_add_f64 v[46:47], v[54:55], v[50:51]
	v_mul_f64 v[50:51], v[24:25], s[12:13]
	v_fma_f64 v[54:55], s[10:11], v[34:35], v[50:51]
	v_add_f64 v[54:55], v[54:55], v[78:79]
	v_mul_f64 v[78:79], v[36:37], s[10:11]
	v_add_f64 v[56:57], v[94:95], v[56:57]
	v_fma_f64 v[94:95], s[8:9], v[38:39], v[78:79]
	v_fma_f64 v[50:51], v[34:35], s[10:11], -v[50:51]
	v_fmac_f64_e32 v[78:79], s[12:13], v[38:39]
	v_add_f64 v[50:51], v[50:51], v[52:53]
	v_add_f64 v[52:53], v[78:79], v[58:59]
	v_mul_f64 v[58:59], v[24:25], s[2:3]
	v_fma_f64 v[78:79], s[16:17], v[34:35], v[58:59]
	v_add_f64 v[78:79], v[78:79], v[84:85]
	v_mul_f64 v[84:85], v[36:37], s[16:17]
	v_add_f64 v[82:83], v[94:95], v[82:83]
	v_fma_f64 v[94:95], s[18:19], v[38:39], v[84:85]
	v_fma_f64 v[58:59], v[34:35], s[16:17], -v[58:59]
	v_fmac_f64_e32 v[84:85], s[2:3], v[38:39]
	v_mul_f64 v[24:25], v[24:25], s[22:23]
	v_mul_f64 v[36:37], v[36:37], s[24:25]
	v_add_f64 v[58:59], v[58:59], v[80:81]
	v_add_f64 v[80:81], v[84:85], v[86:87]
	v_fma_f64 v[84:85], s[24:25], v[34:35], v[24:25]
	v_fma_f64 v[86:87], s[26:27], v[38:39], v[36:37]
	v_fma_f64 v[24:25], v[34:35], s[24:25], -v[24:25]
	v_fmac_f64_e32 v[36:37], s[22:23], v[38:39]
	v_add_f64 v[24:25], v[24:25], v[26:27]
	v_add_f64 v[26:27], v[36:37], v[32:33]
	;; [unrolled: 1-line block ×3, first 2 shown]
	v_add_f64 v[12:13], v[12:13], -v[14:15]
	v_add_f64 v[14:15], v[16:17], -v[18:19]
	v_add_f64 v[34:35], v[16:17], v[18:19]
	v_mul_f64 v[16:17], v[14:15], s[22:23]
	v_fma_f64 v[18:19], s[24:25], v[32:33], v[16:17]
	v_add_f64 v[18:19], v[18:19], v[30:31]
	v_mul_f64 v[30:31], v[34:35], s[24:25]
	v_fma_f64 v[36:37], s[26:27], v[12:13], v[30:31]
	v_fma_f64 v[16:17], v[32:33], s[24:25], -v[16:17]
	v_fmac_f64_e32 v[30:31], s[22:23], v[12:13]
	v_add_f64 v[16:17], v[16:17], v[28:29]
	v_add_f64 v[28:29], v[30:31], v[40:41]
	v_mul_f64 v[30:31], v[14:15], s[20:21]
	v_fma_f64 v[38:39], s[14:15], v[32:33], v[30:31]
	v_mul_f64 v[40:41], v[34:35], s[14:15]
	v_fma_f64 v[30:31], v[32:33], s[14:15], -v[30:31]
	v_add_f64 v[36:37], v[36:37], v[44:45]
	v_fma_f64 v[44:45], s[6:7], v[12:13], v[40:41]
	v_add_f64 v[30:31], v[30:31], v[42:43]
	v_fmac_f64_e32 v[40:41], s[20:21], v[12:13]
	v_mul_f64 v[42:43], v[14:15], s[2:3]
	v_add_f64 v[38:39], v[38:39], v[48:49]
	v_add_f64 v[40:41], v[40:41], v[46:47]
	v_fma_f64 v[46:47], s[16:17], v[32:33], v[42:43]
	v_mul_f64 v[48:49], v[34:35], s[16:17]
	v_fma_f64 v[42:43], v[32:33], s[16:17], -v[42:43]
	v_add_f64 v[46:47], v[46:47], v[54:55]
	v_fma_f64 v[54:55], s[18:19], v[12:13], v[48:49]
	v_add_f64 v[42:43], v[42:43], v[50:51]
	v_fmac_f64_e32 v[48:49], s[2:3], v[12:13]
	v_mul_f64 v[50:51], v[14:15], s[28:29]
	v_add_f64 v[44:45], v[44:45], v[56:57]
	v_add_f64 v[48:49], v[48:49], v[52:53]
	v_fma_f64 v[52:53], s[30:31], v[32:33], v[50:51]
	v_mul_f64 v[56:57], v[34:35], s[30:31]
	v_add_f64 v[88:89], v[88:89], v[96:97]
	v_add_f64 v[92:93], v[92:93], v[98:99]
	;; [unrolled: 1-line block ×3, first 2 shown]
	v_fma_f64 v[78:79], s[34:35], v[12:13], v[56:57]
	v_fmac_f64_e32 v[56:57], s[28:29], v[12:13]
	v_mul_f64 v[34:35], v[34:35], s[10:11]
	v_add_f64 v[90:91], v[94:95], v[90:91]
	v_add_f64 v[84:85], v[84:85], v[88:89]
	;; [unrolled: 1-line block ×4, first 2 shown]
	v_fma_f64 v[80:81], s[8:9], v[12:13], v[34:35]
	v_add_f64 v[88:89], v[8:9], v[10:11]
	v_add_f64 v[92:93], v[8:9], -v[10:11]
	v_add_f64 v[78:79], v[78:79], v[90:91]
	v_add_f64 v[80:81], v[80:81], v[86:87]
	;; [unrolled: 1-line block ×3, first 2 shown]
	v_add_f64 v[90:91], v[4:5], -v[6:7]
	v_mul_f64 v[8:9], v[92:93], s[28:29]
	v_mul_f64 v[10:11], v[88:89], s[30:31]
	v_fma_f64 v[50:51], v[32:33], s[30:31], -v[50:51]
	v_mul_f64 v[14:15], v[14:15], s[12:13]
	v_fma_f64 v[4:5], s[30:31], v[86:87], v[8:9]
	v_fma_f64 v[6:7], s[34:35], v[90:91], v[10:11]
	v_fma_f64 v[8:9], v[86:87], s[30:31], -v[8:9]
	v_fmac_f64_e32 v[10:11], s[28:29], v[90:91]
	v_add_f64 v[50:51], v[50:51], v[58:59]
	v_fma_f64 v[58:59], s[10:11], v[32:33], v[14:15]
	v_fma_f64 v[14:15], v[32:33], s[10:11], -v[14:15]
	v_add_f64 v[4:5], v[4:5], v[18:19]
	v_add_f64 v[8:9], v[8:9], v[16:17]
	;; [unrolled: 1-line block ×3, first 2 shown]
	v_mul_f64 v[16:17], v[92:93], s[18:19]
	v_mul_f64 v[18:19], v[88:89], s[16:17]
	;; [unrolled: 1-line block ×3, first 2 shown]
	v_add_f64 v[54:55], v[54:55], v[82:83]
	v_add_f64 v[82:83], v[14:15], v[24:25]
	v_fmac_f64_e32 v[34:35], s[12:13], v[12:13]
	v_fma_f64 v[12:13], s[16:17], v[86:87], v[16:17]
	v_fma_f64 v[14:15], s[2:3], v[90:91], v[18:19]
	v_fma_f64 v[16:17], v[86:87], s[16:17], -v[16:17]
	v_fma_f64 v[24:25], s[24:25], v[86:87], v[28:29]
	v_add_f64 v[6:7], v[6:7], v[36:37]
	v_add_f64 v[12:13], v[12:13], v[38:39]
	;; [unrolled: 1-line block ×4, first 2 shown]
	v_fmac_f64_e32 v[18:19], s[18:19], v[90:91]
	v_add_f64 v[24:25], v[24:25], v[46:47]
	v_mul_f64 v[30:31], v[88:89], s[24:25]
	v_fma_f64 v[28:29], v[86:87], s[24:25], -v[28:29]
	v_mul_f64 v[36:37], v[92:93], s[12:13]
	v_mul_f64 v[38:39], v[88:89], s[10:11]
	;; [unrolled: 1-line block ×4, first 2 shown]
	v_add_f64 v[0:1], v[0:1], v[102:103]
	v_add_f64 v[58:59], v[58:59], v[84:85]
	v_add_f64 v[84:85], v[34:35], v[26:27]
	v_add_f64 v[18:19], v[18:19], v[40:41]
	v_fma_f64 v[26:27], s[26:27], v[90:91], v[30:31]
	v_add_f64 v[28:29], v[28:29], v[42:43]
	v_fmac_f64_e32 v[30:31], s[22:23], v[90:91]
	v_fma_f64 v[32:33], s[10:11], v[86:87], v[36:37]
	v_fma_f64 v[34:35], s[8:9], v[90:91], v[38:39]
	v_fma_f64 v[36:37], v[86:87], s[10:11], -v[36:37]
	v_fmac_f64_e32 v[38:39], s[12:13], v[90:91]
	v_fma_f64 v[40:41], s[14:15], v[86:87], v[44:45]
	v_fma_f64 v[42:43], s[20:21], v[90:91], v[46:47]
	v_fma_f64 v[44:45], v[86:87], s[14:15], -v[44:45]
	v_fmac_f64_e32 v[46:47], s[6:7], v[90:91]
	v_add_f64 v[26:27], v[26:27], v[54:55]
	v_add_f64 v[30:31], v[30:31], v[48:49]
	;; [unrolled: 1-line block ×10, first 2 shown]
	ds_write_b128 v22, v[0:3]
	ds_write_b128 v22, v[4:7] offset:256
	ds_write_b128 v22, v[12:15] offset:512
	;; [unrolled: 1-line block ×10, first 2 shown]
	v_mul_u32_u24_e32 v0, 10, v60
	v_lshlrev_b32_e32 v42, 4, v0
	s_waitcnt lgkmcnt(0)
	s_barrier
	global_load_dwordx4 v[0:3], v42, s[4:5] offset:2784
	global_load_dwordx4 v[4:7], v42, s[4:5] offset:2800
	;; [unrolled: 1-line block ×10, first 2 shown]
	ds_read_b128 v[42:45], v76
	ds_read_b128 v[46:49], v21
	;; [unrolled: 1-line block ×6, first 2 shown]
	ds_read_b128 v[86:89], v74 offset:16896
	ds_read_b128 v[90:93], v74 offset:19712
	;; [unrolled: 1-line block ×5, first 2 shown]
	s_waitcnt lgkmcnt(0)
	s_barrier
	s_add_u32 s4, s4, 0x78e0
	s_addc_u32 s5, s5, 0
	s_waitcnt vmcnt(9)
	v_mul_f64 v[58:59], v[44:45], v[2:3]
	v_mul_f64 v[2:3], v[42:43], v[2:3]
	v_fmac_f64_e32 v[58:59], v[42:43], v[0:1]
	v_fma_f64 v[42:43], v[44:45], v[0:1], -v[2:3]
	s_waitcnt vmcnt(8)
	v_mul_f64 v[44:45], v[56:57], v[6:7]
	v_mul_f64 v[0:1], v[54:55], v[6:7]
	v_fmac_f64_e32 v[44:45], v[54:55], v[4:5]
	v_fma_f64 v[54:55], v[56:57], v[4:5], -v[0:1]
	;; [unrolled: 5-line block ×4, first 2 shown]
	s_waitcnt vmcnt(5)
	v_mul_f64 v[0:1], v[78:79], v[18:19]
	v_fma_f64 v[6:7], v[80:81], v[16:17], -v[0:1]
	s_waitcnt vmcnt(4)
	v_mul_f64 v[0:1], v[86:87], v[24:25]
	v_mul_f64 v[4:5], v[80:81], v[18:19]
	v_fma_f64 v[10:11], v[88:89], v[22:23], -v[0:1]
	s_waitcnt vmcnt(3)
	v_mul_f64 v[0:1], v[90:91], v[28:29]
	v_fmac_f64_e32 v[4:5], v[78:79], v[16:17]
	v_mul_f64 v[8:9], v[88:89], v[24:25]
	v_fma_f64 v[16:17], v[92:93], v[26:27], -v[0:1]
	s_waitcnt vmcnt(2)
	v_mul_f64 v[0:1], v[94:95], v[32:33]
	v_fmac_f64_e32 v[8:9], v[86:87], v[22:23]
	;; [unrolled: 5-line block ×4, first 2 shown]
	v_fma_f64 v[30:31], v[104:105], v[38:39], -v[0:1]
	v_add_f64 v[0:1], v[82:83], v[58:59]
	v_add_f64 v[2:3], v[84:85], v[42:43]
	v_add_f64 v[0:1], v[0:1], v[44:45]
	v_add_f64 v[2:3], v[2:3], v[54:55]
	v_add_f64 v[0:1], v[0:1], v[56:57]
	v_add_f64 v[2:3], v[2:3], v[46:47]
	v_add_f64 v[0:1], v[0:1], v[48:49]
	v_add_f64 v[2:3], v[2:3], v[12:13]
	v_add_f64 v[0:1], v[0:1], v[4:5]
	v_add_f64 v[2:3], v[2:3], v[6:7]
	v_add_f64 v[0:1], v[0:1], v[8:9]
	v_mul_f64 v[24:25], v[100:101], v[36:37]
	v_add_f64 v[2:3], v[2:3], v[10:11]
	v_add_f64 v[0:1], v[0:1], v[14:15]
	v_fmac_f64_e32 v[24:25], v[98:99], v[34:35]
	v_mul_f64 v[28:29], v[104:105], v[40:41]
	v_add_f64 v[2:3], v[2:3], v[16:17]
	v_add_f64 v[0:1], v[0:1], v[18:19]
	v_fmac_f64_e32 v[28:29], v[102:103], v[38:39]
	v_add_f64 v[2:3], v[2:3], v[22:23]
	v_add_f64 v[0:1], v[0:1], v[24:25]
	v_add_f64 v[34:35], v[42:43], v[30:31]
	v_add_f64 v[2:3], v[2:3], v[26:27]
	v_add_f64 v[0:1], v[0:1], v[28:29]
	v_add_f64 v[32:33], v[58:59], v[28:29]
	v_add_f64 v[28:29], v[58:59], -v[28:29]
	v_mul_f64 v[40:41], v[34:35], s[16:17]
	v_mul_f64 v[58:59], v[34:35], s[10:11]
	;; [unrolled: 1-line block ×5, first 2 shown]
	v_add_f64 v[2:3], v[2:3], v[30:31]
	v_add_f64 v[30:31], v[42:43], -v[30:31]
	v_fma_f64 v[102:103], s[34:35], v[28:29], v[34:35]
	v_fmac_f64_e32 v[34:35], s[28:29], v[28:29]
	v_mul_f64 v[36:37], v[30:31], s[2:3]
	v_fma_f64 v[42:43], s[18:19], v[28:29], v[40:41]
	v_fmac_f64_e32 v[40:41], s[2:3], v[28:29]
	v_mul_f64 v[50:51], v[30:31], s[8:9]
	;; [unrolled: 3-line block ×5, first 2 shown]
	v_add_f64 v[28:29], v[84:85], v[34:35]
	v_add_f64 v[34:35], v[54:55], v[26:27]
	v_add_f64 v[26:27], v[54:55], -v[26:27]
	v_fma_f64 v[38:39], s[16:17], v[32:33], v[36:37]
	v_fma_f64 v[36:37], v[32:33], s[16:17], -v[36:37]
	v_fma_f64 v[52:53], s[10:11], v[32:33], v[50:51]
	v_fma_f64 v[50:51], v[32:33], s[10:11], -v[50:51]
	;; [unrolled: 2-line block ×5, first 2 shown]
	v_add_f64 v[32:33], v[44:45], v[24:25]
	v_add_f64 v[24:25], v[44:45], -v[24:25]
	v_mul_f64 v[44:45], v[26:27], s[8:9]
	v_add_f64 v[38:39], v[82:83], v[38:39]
	v_fma_f64 v[54:55], s[10:11], v[32:33], v[44:45]
	v_add_f64 v[36:37], v[82:83], v[36:37]
	v_add_f64 v[38:39], v[54:55], v[38:39]
	v_mul_f64 v[54:55], v[34:35], s[10:11]
	v_fma_f64 v[44:45], v[32:33], s[10:11], -v[44:45]
	v_add_f64 v[40:41], v[84:85], v[40:41]
	v_add_f64 v[52:53], v[82:83], v[52:53]
	v_add_f64 v[50:51], v[82:83], v[50:51]
	v_add_f64 v[86:87], v[82:83], v[86:87]
	v_add_f64 v[80:81], v[82:83], v[80:81]
	v_add_f64 v[94:95], v[82:83], v[94:95]
	v_add_f64 v[92:93], v[82:83], v[92:93]
	v_add_f64 v[100:101], v[82:83], v[100:101]
	v_add_f64 v[30:31], v[82:83], v[30:31]
	v_fma_f64 v[82:83], s[12:13], v[24:25], v[54:55]
	v_add_f64 v[36:37], v[44:45], v[36:37]
	v_fmac_f64_e32 v[54:55], s[8:9], v[24:25]
	v_mul_f64 v[44:45], v[26:27], s[22:23]
	v_add_f64 v[40:41], v[54:55], v[40:41]
	v_fma_f64 v[54:55], s[24:25], v[32:33], v[44:45]
	v_add_f64 v[42:43], v[84:85], v[42:43]
	v_add_f64 v[52:53], v[54:55], v[52:53]
	v_mul_f64 v[54:55], v[34:35], s[24:25]
	v_add_f64 v[78:79], v[84:85], v[78:79]
	v_add_f64 v[58:59], v[84:85], v[58:59]
	;; [unrolled: 1-line block ×3, first 2 shown]
	v_fma_f64 v[82:83], s[26:27], v[24:25], v[54:55]
	v_fma_f64 v[44:45], v[32:33], s[24:25], -v[44:45]
	v_fmac_f64_e32 v[54:55], s[22:23], v[24:25]
	v_add_f64 v[78:79], v[82:83], v[78:79]
	v_add_f64 v[44:45], v[44:45], v[50:51]
	;; [unrolled: 1-line block ×3, first 2 shown]
	v_mul_f64 v[54:55], v[26:27], s[34:35]
	v_mul_f64 v[82:83], v[34:35], s[30:31]
	v_add_f64 v[90:91], v[84:85], v[90:91]
	v_add_f64 v[88:89], v[84:85], v[88:89]
	;; [unrolled: 1-line block ×5, first 2 shown]
	v_fma_f64 v[58:59], s[30:31], v[32:33], v[54:55]
	v_fma_f64 v[84:85], s[28:29], v[24:25], v[82:83]
	v_fma_f64 v[54:55], v[32:33], s[30:31], -v[54:55]
	v_fmac_f64_e32 v[82:83], s[34:35], v[24:25]
	v_add_f64 v[54:55], v[54:55], v[80:81]
	v_add_f64 v[80:81], v[82:83], v[88:89]
	v_mul_f64 v[82:83], v[26:27], s[20:21]
	v_add_f64 v[58:59], v[58:59], v[86:87]
	v_fma_f64 v[86:87], s[14:15], v[32:33], v[82:83]
	v_fma_f64 v[82:83], v[32:33], s[14:15], -v[82:83]
	v_mul_f64 v[26:27], v[26:27], s[18:19]
	v_mul_f64 v[88:89], v[34:35], s[14:15]
	v_add_f64 v[82:83], v[82:83], v[92:93]
	v_fma_f64 v[92:93], s[16:17], v[32:33], v[26:27]
	v_mul_f64 v[34:35], v[34:35], s[16:17]
	v_fma_f64 v[26:27], v[32:33], s[16:17], -v[26:27]
	v_add_f64 v[86:87], v[86:87], v[94:95]
	v_fma_f64 v[94:95], s[2:3], v[24:25], v[34:35]
	v_add_f64 v[26:27], v[26:27], v[30:31]
	v_fmac_f64_e32 v[34:35], s[18:19], v[24:25]
	v_add_f64 v[30:31], v[46:47], v[22:23]
	v_add_f64 v[22:23], v[46:47], -v[22:23]
	v_add_f64 v[84:85], v[84:85], v[90:91]
	v_fma_f64 v[90:91], s[6:7], v[24:25], v[88:89]
	v_fmac_f64_e32 v[88:89], s[20:21], v[24:25]
	v_add_f64 v[24:25], v[34:35], v[28:29]
	v_add_f64 v[28:29], v[56:57], v[18:19]
	v_mul_f64 v[32:33], v[22:23], s[6:7]
	v_fma_f64 v[34:35], s[14:15], v[28:29], v[32:33]
	v_add_f64 v[18:19], v[56:57], -v[18:19]
	v_add_f64 v[34:35], v[34:35], v[38:39]
	v_mul_f64 v[38:39], v[30:31], s[14:15]
	v_fma_f64 v[46:47], s[20:21], v[18:19], v[38:39]
	v_fma_f64 v[32:33], v[28:29], s[14:15], -v[32:33]
	v_fmac_f64_e32 v[38:39], s[6:7], v[18:19]
	v_add_f64 v[32:33], v[32:33], v[36:37]
	v_add_f64 v[36:37], v[38:39], v[40:41]
	v_mul_f64 v[38:39], v[22:23], s[34:35]
	v_add_f64 v[42:43], v[46:47], v[42:43]
	v_fma_f64 v[40:41], s[30:31], v[28:29], v[38:39]
	v_mul_f64 v[46:47], v[30:31], s[30:31]
	v_add_f64 v[40:41], v[40:41], v[52:53]
	v_fma_f64 v[52:53], s[28:29], v[18:19], v[46:47]
	v_fma_f64 v[38:39], v[28:29], s[30:31], -v[38:39]
	v_fmac_f64_e32 v[46:47], s[34:35], v[18:19]
	v_add_f64 v[38:39], v[38:39], v[44:45]
	v_add_f64 v[44:45], v[46:47], v[50:51]
	v_mul_f64 v[46:47], v[22:23], s[12:13]
	v_fma_f64 v[50:51], s[10:11], v[28:29], v[46:47]
	v_mul_f64 v[56:57], v[30:31], s[10:11]
	v_add_f64 v[50:51], v[50:51], v[58:59]
	v_fma_f64 v[58:59], s[8:9], v[18:19], v[56:57]
	v_fma_f64 v[46:47], v[28:29], s[10:11], -v[46:47]
	v_fmac_f64_e32 v[56:57], s[12:13], v[18:19]
	v_add_f64 v[46:47], v[46:47], v[54:55]
	v_add_f64 v[54:55], v[56:57], v[80:81]
	v_mul_f64 v[56:57], v[22:23], s[2:3]
	v_add_f64 v[52:53], v[52:53], v[78:79]
	v_fma_f64 v[78:79], s[16:17], v[28:29], v[56:57]
	v_fma_f64 v[56:57], v[28:29], s[16:17], -v[56:57]
	v_mul_f64 v[22:23], v[22:23], s[22:23]
	v_mul_f64 v[80:81], v[30:31], s[16:17]
	v_add_f64 v[56:57], v[56:57], v[82:83]
	v_fma_f64 v[82:83], s[24:25], v[28:29], v[22:23]
	v_mul_f64 v[30:31], v[30:31], s[24:25]
	v_fma_f64 v[22:23], v[28:29], s[24:25], -v[22:23]
	v_add_f64 v[78:79], v[78:79], v[86:87]
	v_fma_f64 v[86:87], s[26:27], v[18:19], v[30:31]
	v_add_f64 v[22:23], v[22:23], v[26:27]
	v_fmac_f64_e32 v[30:31], s[22:23], v[18:19]
	v_add_f64 v[26:27], v[12:13], v[16:17]
	v_add_f64 v[12:13], v[12:13], -v[16:17]
	v_add_f64 v[58:59], v[58:59], v[84:85]
	v_fma_f64 v[84:85], s[18:19], v[18:19], v[80:81]
	v_fmac_f64_e32 v[80:81], s[2:3], v[18:19]
	v_add_f64 v[18:19], v[30:31], v[24:25]
	v_add_f64 v[24:25], v[48:49], v[14:15]
	v_mul_f64 v[16:17], v[12:13], s[22:23]
	v_add_f64 v[14:15], v[48:49], -v[14:15]
	v_fma_f64 v[28:29], s[24:25], v[24:25], v[16:17]
	v_mul_f64 v[30:31], v[26:27], s[24:25]
	v_fma_f64 v[16:17], v[24:25], s[24:25], -v[16:17]
	v_add_f64 v[28:29], v[28:29], v[34:35]
	v_fma_f64 v[34:35], s[26:27], v[14:15], v[30:31]
	v_add_f64 v[16:17], v[16:17], v[32:33]
	v_fmac_f64_e32 v[30:31], s[22:23], v[14:15]
	v_mul_f64 v[32:33], v[12:13], s[20:21]
	v_add_f64 v[30:31], v[30:31], v[36:37]
	v_fma_f64 v[36:37], s[14:15], v[24:25], v[32:33]
	v_add_f64 v[36:37], v[36:37], v[40:41]
	v_mul_f64 v[40:41], v[26:27], s[14:15]
	v_add_f64 v[34:35], v[34:35], v[42:43]
	v_fma_f64 v[42:43], s[6:7], v[14:15], v[40:41]
	v_fma_f64 v[32:33], v[24:25], s[14:15], -v[32:33]
	v_fmac_f64_e32 v[40:41], s[20:21], v[14:15]
	v_add_f64 v[32:33], v[32:33], v[38:39]
	v_add_f64 v[38:39], v[40:41], v[44:45]
	v_mul_f64 v[40:41], v[12:13], s[2:3]
	v_fma_f64 v[44:45], s[16:17], v[24:25], v[40:41]
	v_mul_f64 v[48:49], v[26:27], s[16:17]
	v_add_f64 v[44:45], v[44:45], v[50:51]
	v_fma_f64 v[50:51], s[18:19], v[14:15], v[48:49]
	v_fma_f64 v[40:41], v[24:25], s[16:17], -v[40:41]
	v_fmac_f64_e32 v[48:49], s[2:3], v[14:15]
	v_add_f64 v[90:91], v[90:91], v[98:99]
	v_add_f64 v[40:41], v[40:41], v[46:47]
	;; [unrolled: 1-line block ×3, first 2 shown]
	v_mul_f64 v[48:49], v[12:13], s[28:29]
	v_mul_f64 v[54:55], v[26:27], s[30:31]
	v_add_f64 v[88:89], v[88:89], v[96:97]
	v_add_f64 v[94:95], v[94:95], v[102:103]
	;; [unrolled: 1-line block ×5, first 2 shown]
	v_fma_f64 v[52:53], s[30:31], v[24:25], v[48:49]
	v_fma_f64 v[58:59], s[34:35], v[14:15], v[54:55]
	v_mul_f64 v[26:27], v[26:27], s[10:11]
	v_add_f64 v[90:91], v[6:7], -v[10:11]
	v_add_f64 v[92:93], v[92:93], v[100:101]
	v_add_f64 v[80:81], v[80:81], v[88:89]
	;; [unrolled: 1-line block ×5, first 2 shown]
	v_fma_f64 v[48:49], v[24:25], s[30:31], -v[48:49]
	v_mul_f64 v[12:13], v[12:13], s[12:13]
	v_fma_f64 v[78:79], s[8:9], v[14:15], v[26:27]
	v_add_f64 v[84:85], v[4:5], v[8:9]
	v_add_f64 v[88:89], v[4:5], -v[8:9]
	v_mul_f64 v[8:9], v[90:91], s[28:29]
	v_add_f64 v[82:83], v[82:83], v[92:93]
	v_add_f64 v[48:49], v[48:49], v[56:57]
	v_fma_f64 v[56:57], s[10:11], v[24:25], v[12:13]
	v_add_f64 v[78:79], v[78:79], v[86:87]
	v_fmac_f64_e32 v[26:27], s[12:13], v[14:15]
	v_add_f64 v[86:87], v[6:7], v[10:11]
	v_fma_f64 v[4:5], s[30:31], v[84:85], v[8:9]
	v_fma_f64 v[8:9], v[84:85], s[30:31], -v[8:9]
	v_fmac_f64_e32 v[54:55], s[28:29], v[14:15]
	v_add_f64 v[56:57], v[56:57], v[82:83]
	v_fma_f64 v[12:13], v[24:25], s[10:11], -v[12:13]
	v_add_f64 v[82:83], v[26:27], v[18:19]
	v_mul_f64 v[10:11], v[86:87], s[30:31]
	v_add_f64 v[8:9], v[8:9], v[16:17]
	v_mul_f64 v[16:17], v[90:91], s[18:19]
	v_mul_f64 v[18:19], v[86:87], s[16:17]
	;; [unrolled: 1-line block ×3, first 2 shown]
	v_add_f64 v[54:55], v[54:55], v[80:81]
	v_add_f64 v[80:81], v[12:13], v[22:23]
	v_fma_f64 v[6:7], s[34:35], v[88:89], v[10:11]
	v_fma_f64 v[12:13], s[16:17], v[84:85], v[16:17]
	;; [unrolled: 1-line block ×4, first 2 shown]
	v_add_f64 v[4:5], v[4:5], v[28:29]
	v_add_f64 v[6:7], v[6:7], v[34:35]
	v_fmac_f64_e32 v[10:11], s[28:29], v[88:89]
	v_add_f64 v[12:13], v[12:13], v[36:37]
	v_add_f64 v[14:15], v[14:15], v[42:43]
	v_fma_f64 v[16:17], v[84:85], s[16:17], -v[16:17]
	v_fmac_f64_e32 v[18:19], s[18:19], v[88:89]
	v_add_f64 v[22:23], v[22:23], v[44:45]
	v_mul_f64 v[28:29], v[86:87], s[24:25]
	v_fma_f64 v[26:27], v[84:85], s[24:25], -v[26:27]
	v_mul_f64 v[34:35], v[90:91], s[12:13]
	v_mul_f64 v[36:37], v[86:87], s[10:11]
	;; [unrolled: 1-line block ×4, first 2 shown]
	v_add_f64 v[10:11], v[10:11], v[30:31]
	v_add_f64 v[16:17], v[16:17], v[32:33]
	;; [unrolled: 1-line block ×3, first 2 shown]
	v_fma_f64 v[24:25], s[26:27], v[88:89], v[28:29]
	v_add_f64 v[26:27], v[26:27], v[40:41]
	v_fmac_f64_e32 v[28:29], s[22:23], v[88:89]
	v_fma_f64 v[30:31], s[10:11], v[84:85], v[34:35]
	v_fma_f64 v[32:33], s[8:9], v[88:89], v[36:37]
	v_fma_f64 v[34:35], v[84:85], s[10:11], -v[34:35]
	v_fmac_f64_e32 v[36:37], s[12:13], v[88:89]
	v_fma_f64 v[38:39], s[14:15], v[84:85], v[42:43]
	v_fma_f64 v[40:41], s[20:21], v[88:89], v[44:45]
	v_fma_f64 v[42:43], v[84:85], s[14:15], -v[42:43]
	v_fmac_f64_e32 v[44:45], s[6:7], v[88:89]
	v_add_f64 v[24:25], v[24:25], v[50:51]
	v_add_f64 v[28:29], v[28:29], v[46:47]
	;; [unrolled: 1-line block ×10, first 2 shown]
	ds_write_b128 v74, v[0:3]
	ds_write_b128 v74, v[4:7] offset:2816
	ds_write_b128 v74, v[12:15] offset:5632
	;; [unrolled: 1-line block ×10, first 2 shown]
	s_waitcnt lgkmcnt(0)
	s_barrier
	ds_read_b128 v[4:7], v74
	v_sub_u32_e32 v10, 0, v61
	v_cmp_ne_u32_e64 s[2:3], 0, v60
                                        ; implicit-def: $vgpr2_vgpr3
                                        ; implicit-def: $vgpr8_vgpr9
	s_and_saveexec_b64 s[6:7], s[2:3]
	s_xor_b64 s[2:3], exec, s[6:7]
	s_cbranch_execz .LBB0_25
; %bb.24:
	v_mov_b32_e32 v61, 0
	v_lshl_add_u64 v[0:1], v[60:61], 4, s[4:5]
	global_load_dwordx4 v[12:15], v[0:1], off
	ds_read_b128 v[0:3], v10 offset:30976
	s_waitcnt lgkmcnt(0)
	v_add_f64 v[16:17], v[4:5], v[0:1]
	v_add_f64 v[0:1], v[4:5], -v[0:1]
	v_add_f64 v[8:9], v[6:7], v[2:3]
	v_add_f64 v[2:3], v[6:7], -v[2:3]
	v_mul_f64 v[6:7], v[0:1], 0.5
	v_mul_f64 v[0:1], v[2:3], 0.5
	;; [unrolled: 1-line block ×3, first 2 shown]
	s_waitcnt vmcnt(0)
	v_mul_f64 v[2:3], v[6:7], v[14:15]
	v_fma_f64 v[18:19], 0.5, v[16:17], v[2:3]
	v_fma_f64 v[8:9], v[4:5], v[14:15], v[0:1]
	v_fma_f64 v[14:15], v[4:5], v[14:15], -v[0:1]
	v_fma_f64 v[0:1], v[16:17], 0.5, -v[2:3]
	v_fmac_f64_e32 v[18:19], v[4:5], v[12:13]
	v_fma_f64 v[8:9], -v[12:13], v[6:7], v[8:9]
	v_fma_f64 v[0:1], -v[4:5], v[12:13], v[0:1]
	ds_write_b64 v74, v[18:19]
	v_fma_f64 v[2:3], -v[12:13], v[6:7], v[14:15]
                                        ; implicit-def: $vgpr4_vgpr5
.LBB0_25:
	s_andn2_saveexec_b64 s[2:3], s[2:3]
	s_cbranch_execz .LBB0_27
; %bb.26:
	v_mov_b32_e32 v11, 0
	ds_read_b64 v[2:3], v11 offset:15496
	v_mov_b64_e32 v[8:9], 0
	s_waitcnt lgkmcnt(1)
	v_add_f64 v[12:13], v[4:5], v[6:7]
	v_add_f64 v[0:1], v[4:5], -v[6:7]
	ds_write_b64 v74, v[12:13]
	s_waitcnt lgkmcnt(1)
	v_xor_b32_e32 v3, 0x80000000, v3
	ds_write_b64 v11, v[2:3] offset:15496
	v_mov_b64_e32 v[2:3], v[8:9]
.LBB0_27:
	s_or_b64 exec, exec, s[2:3]
	v_mov_b32_e32 v67, 0
	s_waitcnt lgkmcnt(0)
	v_lshl_add_u64 v[4:5], v[66:67], 4, s[4:5]
	global_load_dwordx4 v[4:7], v[4:5], off
	v_mov_b32_e32 v73, v67
	v_lshl_add_u64 v[12:13], v[72:73], 4, s[4:5]
	global_load_dwordx4 v[12:15], v[12:13], off
	v_mov_b32_e32 v71, v67
	;; [unrolled: 3-line block ×3, first 2 shown]
	ds_write_b64 v74, v[8:9] offset:8
	ds_write_b128 v10, v[0:3] offset:30976
	v_lshl_add_u64 v[8:9], v[68:69], 4, s[4:5]
	ds_read_b128 v[0:3], v76
	ds_read_b128 v[22:25], v10 offset:28160
	global_load_dwordx4 v[26:29], v[8:9], off
	s_waitcnt lgkmcnt(0)
	v_add_f64 v[8:9], v[0:1], v[22:23]
	v_add_f64 v[0:1], v[0:1], -v[22:23]
	v_add_f64 v[30:31], v[2:3], v[24:25]
	v_add_f64 v[2:3], v[2:3], -v[24:25]
	v_mul_f64 v[24:25], v[0:1], 0.5
	v_mul_f64 v[22:23], v[30:31], 0.5
	v_mul_f64 v[0:1], v[2:3], 0.5
	s_waitcnt vmcnt(3)
	v_mul_f64 v[30:31], v[24:25], v[6:7]
	v_fma_f64 v[2:3], v[22:23], v[6:7], v[0:1]
	v_fma_f64 v[6:7], v[22:23], v[6:7], -v[0:1]
	v_fma_f64 v[0:1], 0.5, v[8:9], v[30:31]
	v_fma_f64 v[2:3], -v[4:5], v[24:25], v[2:3]
	v_fma_f64 v[8:9], v[8:9], 0.5, -v[30:31]
	v_fmac_f64_e32 v[0:1], v[22:23], v[4:5]
	v_fma_f64 v[6:7], -v[4:5], v[24:25], v[6:7]
	v_fma_f64 v[4:5], -v[22:23], v[4:5], v[8:9]
	ds_write_b128 v76, v[0:3]
	ds_write_b128 v10, v[4:7] offset:28160
	ds_read_b128 v[0:3], v65
	ds_read_b128 v[4:7], v10 offset:25344
	s_waitcnt lgkmcnt(0)
	v_add_f64 v[8:9], v[0:1], v[4:5]
	v_add_f64 v[0:1], v[0:1], -v[4:5]
	v_add_f64 v[22:23], v[2:3], v[6:7]
	v_add_f64 v[2:3], v[2:3], -v[6:7]
	v_mul_f64 v[6:7], v[0:1], 0.5
	v_mul_f64 v[4:5], v[22:23], 0.5
	v_mul_f64 v[0:1], v[2:3], 0.5
	s_waitcnt vmcnt(2)
	v_mul_f64 v[22:23], v[6:7], v[14:15]
	v_fma_f64 v[2:3], v[4:5], v[14:15], v[0:1]
	v_fma_f64 v[14:15], v[4:5], v[14:15], -v[0:1]
	v_fma_f64 v[0:1], 0.5, v[8:9], v[22:23]
	v_fma_f64 v[2:3], -v[12:13], v[6:7], v[2:3]
	v_fma_f64 v[8:9], v[8:9], 0.5, -v[22:23]
	v_fmac_f64_e32 v[0:1], v[4:5], v[12:13]
	v_fma_f64 v[6:7], -v[12:13], v[6:7], v[14:15]
	v_fma_f64 v[4:5], -v[4:5], v[12:13], v[8:9]
	ds_write_b128 v65, v[0:3]
	ds_write_b128 v10, v[4:7] offset:25344
	ds_read_b128 v[0:3], v21
	ds_read_b128 v[4:7], v10 offset:22528
	;; [unrolled: 22-line block ×3, first 2 shown]
	s_waitcnt lgkmcnt(0)
	v_add_f64 v[8:9], v[0:1], v[4:5]
	v_add_f64 v[0:1], v[0:1], -v[4:5]
	v_add_f64 v[12:13], v[2:3], v[6:7]
	v_add_f64 v[2:3], v[2:3], -v[6:7]
	v_mul_f64 v[6:7], v[0:1], 0.5
	v_mul_f64 v[4:5], v[12:13], 0.5
	;; [unrolled: 1-line block ×3, first 2 shown]
	s_waitcnt vmcnt(0)
	v_mul_f64 v[12:13], v[6:7], v[28:29]
	v_fma_f64 v[2:3], v[4:5], v[28:29], v[0:1]
	v_fma_f64 v[14:15], v[4:5], v[28:29], -v[0:1]
	v_fma_f64 v[0:1], 0.5, v[8:9], v[12:13]
	v_fma_f64 v[2:3], -v[26:27], v[6:7], v[2:3]
	v_fma_f64 v[8:9], v[8:9], 0.5, -v[12:13]
	v_fmac_f64_e32 v[0:1], v[4:5], v[26:27]
	v_fma_f64 v[6:7], -v[26:27], v[6:7], v[14:15]
	v_fma_f64 v[4:5], -v[4:5], v[26:27], v[8:9]
	ds_write_b128 v20, v[0:3]
	ds_write_b128 v10, v[4:7] offset:19712
	s_and_saveexec_b64 s[2:3], vcc
	s_cbranch_execz .LBB0_29
; %bb.28:
	v_mov_b32_e32 v65, v67
	v_lshl_add_u64 v[0:1], v[64:65], 4, s[4:5]
	global_load_dwordx4 v[0:3], v[0:1], off
	ds_read_b128 v[4:7], v75
	ds_read_b128 v[12:15], v10 offset:16896
	s_waitcnt lgkmcnt(0)
	v_add_f64 v[8:9], v[4:5], v[12:13]
	v_add_f64 v[4:5], v[4:5], -v[12:13]
	v_add_f64 v[16:17], v[6:7], v[14:15]
	v_add_f64 v[6:7], v[6:7], -v[14:15]
	v_mul_f64 v[14:15], v[4:5], 0.5
	v_mul_f64 v[12:13], v[16:17], 0.5
	;; [unrolled: 1-line block ×3, first 2 shown]
	s_waitcnt vmcnt(0)
	v_mul_f64 v[6:7], v[14:15], v[2:3]
	v_fma_f64 v[16:17], v[12:13], v[2:3], v[4:5]
	v_fma_f64 v[18:19], v[12:13], v[2:3], -v[4:5]
	v_fma_f64 v[2:3], 0.5, v[8:9], v[6:7]
	v_fma_f64 v[4:5], -v[0:1], v[14:15], v[16:17]
	v_fma_f64 v[6:7], v[8:9], 0.5, -v[6:7]
	v_fmac_f64_e32 v[2:3], v[12:13], v[0:1]
	v_fma_f64 v[8:9], -v[0:1], v[14:15], v[18:19]
	v_fma_f64 v[6:7], -v[12:13], v[0:1], v[6:7]
	ds_write_b128 v75, v[2:5]
	ds_write_b128 v10, v[6:9] offset:16896
.LBB0_29:
	s_or_b64 exec, exec, s[2:3]
	s_waitcnt lgkmcnt(0)
	s_barrier
	s_and_saveexec_b64 s[2:3], s[0:1]
	s_cbranch_execz .LBB0_32
; %bb.30:
	ds_read_b128 v[0:3], v74
	ds_read_b128 v[4:7], v74 offset:2816
	v_mov_b32_e32 v61, 0
	v_lshl_add_u64 v[8:9], v[60:61], 4, v[62:63]
	v_add_co_u32_e32 v10, vcc, 0x1000, v8
	s_waitcnt lgkmcnt(1)
	global_store_dwordx4 v[8:9], v[0:3], off
	s_waitcnt lgkmcnt(0)
	global_store_dwordx4 v[8:9], v[4:7], off offset:2816
	ds_read_b128 v[0:3], v74 offset:5632
	ds_read_b128 v[4:7], v74 offset:8448
	v_addc_co_u32_e32 v11, vcc, 0, v9, vcc
	s_movk_i32 s0, 0xaf
	s_waitcnt lgkmcnt(1)
	global_store_dwordx4 v[10:11], v[0:3], off offset:1536
	v_add_co_u32_e32 v10, vcc, 0x2000, v8
	ds_read_b128 v[0:3], v74 offset:11264
	s_nop 0
	v_addc_co_u32_e32 v11, vcc, 0, v9, vcc
	s_waitcnt lgkmcnt(1)
	global_store_dwordx4 v[10:11], v[4:7], off offset:256
	ds_read_b128 v[4:7], v74 offset:14080
	s_waitcnt lgkmcnt(1)
	global_store_dwordx4 v[10:11], v[0:3], off offset:3072
	s_nop 1
	v_add_co_u32_e32 v0, vcc, 0x3000, v8
	s_nop 1
	v_addc_co_u32_e32 v1, vcc, 0, v9, vcc
	s_waitcnt lgkmcnt(0)
	global_store_dwordx4 v[0:1], v[4:7], off offset:1792
	ds_read_b128 v[0:3], v74 offset:16896
	ds_read_b128 v[4:7], v74 offset:19712
	v_add_co_u32_e32 v10, vcc, 0x4000, v8
	s_nop 1
	v_addc_co_u32_e32 v11, vcc, 0, v9, vcc
	s_waitcnt lgkmcnt(1)
	global_store_dwordx4 v[10:11], v[0:3], off offset:512
	s_waitcnt lgkmcnt(0)
	global_store_dwordx4 v[10:11], v[4:7], off offset:3328
	ds_read_b128 v[0:3], v74 offset:22528
	ds_read_b128 v[4:7], v74 offset:25344
	v_add_co_u32_e32 v10, vcc, 0x5000, v8
	s_nop 1
	v_addc_co_u32_e32 v11, vcc, 0, v9, vcc
	s_waitcnt lgkmcnt(1)
	global_store_dwordx4 v[10:11], v[0:3], off offset:2048
	ds_read_b128 v[0:3], v74 offset:28160
	v_add_co_u32_e32 v8, vcc, 0x6000, v8
	s_nop 1
	v_addc_co_u32_e32 v9, vcc, 0, v9, vcc
	v_cmp_eq_u32_e32 vcc, s0, v60
	s_waitcnt lgkmcnt(1)
	global_store_dwordx4 v[8:9], v[4:7], off offset:768
	s_waitcnt lgkmcnt(0)
	global_store_dwordx4 v[8:9], v[0:3], off offset:3584
	s_and_b64 exec, exec, vcc
	s_cbranch_execz .LBB0_32
; %bb.31:
	ds_read_b128 v[0:3], v61 offset:30976
	v_add_co_u32_e32 v4, vcc, 0x7000, v62
	s_nop 1
	v_addc_co_u32_e32 v5, vcc, 0, v63, vcc
	s_waitcnt lgkmcnt(0)
	global_store_dwordx4 v[4:5], v[0:3], off offset:2304
.LBB0_32:
	s_endpgm
	.section	.rodata,"a",@progbits
	.p2align	6, 0x0
	.amdhsa_kernel fft_rtc_back_len1936_factors_2_2_4_11_11_wgs_176_tpt_176_dp_ip_CI_unitstride_sbrr_R2C_dirReg
		.amdhsa_group_segment_fixed_size 0
		.amdhsa_private_segment_fixed_size 0
		.amdhsa_kernarg_size 88
		.amdhsa_user_sgpr_count 2
		.amdhsa_user_sgpr_dispatch_ptr 0
		.amdhsa_user_sgpr_queue_ptr 0
		.amdhsa_user_sgpr_kernarg_segment_ptr 1
		.amdhsa_user_sgpr_dispatch_id 0
		.amdhsa_user_sgpr_kernarg_preload_length 0
		.amdhsa_user_sgpr_kernarg_preload_offset 0
		.amdhsa_user_sgpr_private_segment_size 0
		.amdhsa_uses_dynamic_stack 0
		.amdhsa_enable_private_segment 0
		.amdhsa_system_sgpr_workgroup_id_x 1
		.amdhsa_system_sgpr_workgroup_id_y 0
		.amdhsa_system_sgpr_workgroup_id_z 0
		.amdhsa_system_sgpr_workgroup_info 0
		.amdhsa_system_vgpr_workitem_id 0
		.amdhsa_next_free_vgpr 122
		.amdhsa_next_free_sgpr 36
		.amdhsa_accum_offset 124
		.amdhsa_reserve_vcc 1
		.amdhsa_float_round_mode_32 0
		.amdhsa_float_round_mode_16_64 0
		.amdhsa_float_denorm_mode_32 3
		.amdhsa_float_denorm_mode_16_64 3
		.amdhsa_dx10_clamp 1
		.amdhsa_ieee_mode 1
		.amdhsa_fp16_overflow 0
		.amdhsa_tg_split 0
		.amdhsa_exception_fp_ieee_invalid_op 0
		.amdhsa_exception_fp_denorm_src 0
		.amdhsa_exception_fp_ieee_div_zero 0
		.amdhsa_exception_fp_ieee_overflow 0
		.amdhsa_exception_fp_ieee_underflow 0
		.amdhsa_exception_fp_ieee_inexact 0
		.amdhsa_exception_int_div_zero 0
	.end_amdhsa_kernel
	.text
.Lfunc_end0:
	.size	fft_rtc_back_len1936_factors_2_2_4_11_11_wgs_176_tpt_176_dp_ip_CI_unitstride_sbrr_R2C_dirReg, .Lfunc_end0-fft_rtc_back_len1936_factors_2_2_4_11_11_wgs_176_tpt_176_dp_ip_CI_unitstride_sbrr_R2C_dirReg
                                        ; -- End function
	.section	.AMDGPU.csdata,"",@progbits
; Kernel info:
; codeLenInByte = 11460
; NumSgprs: 42
; NumVgprs: 122
; NumAgprs: 0
; TotalNumVgprs: 122
; ScratchSize: 0
; MemoryBound: 0
; FloatMode: 240
; IeeeMode: 1
; LDSByteSize: 0 bytes/workgroup (compile time only)
; SGPRBlocks: 5
; VGPRBlocks: 15
; NumSGPRsForWavesPerEU: 42
; NumVGPRsForWavesPerEU: 122
; AccumOffset: 124
; Occupancy: 4
; WaveLimiterHint : 1
; COMPUTE_PGM_RSRC2:SCRATCH_EN: 0
; COMPUTE_PGM_RSRC2:USER_SGPR: 2
; COMPUTE_PGM_RSRC2:TRAP_HANDLER: 0
; COMPUTE_PGM_RSRC2:TGID_X_EN: 1
; COMPUTE_PGM_RSRC2:TGID_Y_EN: 0
; COMPUTE_PGM_RSRC2:TGID_Z_EN: 0
; COMPUTE_PGM_RSRC2:TIDIG_COMP_CNT: 0
; COMPUTE_PGM_RSRC3_GFX90A:ACCUM_OFFSET: 30
; COMPUTE_PGM_RSRC3_GFX90A:TG_SPLIT: 0
	.text
	.p2alignl 6, 3212836864
	.fill 256, 4, 3212836864
	.type	__hip_cuid_dda4899372e6799d,@object ; @__hip_cuid_dda4899372e6799d
	.section	.bss,"aw",@nobits
	.globl	__hip_cuid_dda4899372e6799d
__hip_cuid_dda4899372e6799d:
	.byte	0                               ; 0x0
	.size	__hip_cuid_dda4899372e6799d, 1

	.ident	"AMD clang version 19.0.0git (https://github.com/RadeonOpenCompute/llvm-project roc-6.4.0 25133 c7fe45cf4b819c5991fe208aaa96edf142730f1d)"
	.section	".note.GNU-stack","",@progbits
	.addrsig
	.addrsig_sym __hip_cuid_dda4899372e6799d
	.amdgpu_metadata
---
amdhsa.kernels:
  - .agpr_count:     0
    .args:
      - .actual_access:  read_only
        .address_space:  global
        .offset:         0
        .size:           8
        .value_kind:     global_buffer
      - .offset:         8
        .size:           8
        .value_kind:     by_value
      - .actual_access:  read_only
        .address_space:  global
        .offset:         16
        .size:           8
        .value_kind:     global_buffer
      - .actual_access:  read_only
        .address_space:  global
        .offset:         24
        .size:           8
        .value_kind:     global_buffer
      - .offset:         32
        .size:           8
        .value_kind:     by_value
      - .actual_access:  read_only
        .address_space:  global
        .offset:         40
        .size:           8
        .value_kind:     global_buffer
      - .actual_access:  read_only
        .address_space:  global
        .offset:         48
        .size:           8
        .value_kind:     global_buffer
      - .offset:         56
        .size:           4
        .value_kind:     by_value
      - .actual_access:  read_only
        .address_space:  global
        .offset:         64
        .size:           8
        .value_kind:     global_buffer
      - .actual_access:  read_only
        .address_space:  global
        .offset:         72
        .size:           8
        .value_kind:     global_buffer
      - .address_space:  global
        .offset:         80
        .size:           8
        .value_kind:     global_buffer
    .group_segment_fixed_size: 0
    .kernarg_segment_align: 8
    .kernarg_segment_size: 88
    .language:       OpenCL C
    .language_version:
      - 2
      - 0
    .max_flat_workgroup_size: 176
    .name:           fft_rtc_back_len1936_factors_2_2_4_11_11_wgs_176_tpt_176_dp_ip_CI_unitstride_sbrr_R2C_dirReg
    .private_segment_fixed_size: 0
    .sgpr_count:     42
    .sgpr_spill_count: 0
    .symbol:         fft_rtc_back_len1936_factors_2_2_4_11_11_wgs_176_tpt_176_dp_ip_CI_unitstride_sbrr_R2C_dirReg.kd
    .uniform_work_group_size: 1
    .uses_dynamic_stack: false
    .vgpr_count:     122
    .vgpr_spill_count: 0
    .wavefront_size: 64
amdhsa.target:   amdgcn-amd-amdhsa--gfx950
amdhsa.version:
  - 1
  - 2
...

	.end_amdgpu_metadata
